;; amdgpu-corpus repo=ROCm/rocFFT kind=compiled arch=gfx1030 opt=O3
	.text
	.amdgcn_target "amdgcn-amd-amdhsa--gfx1030"
	.amdhsa_code_object_version 6
	.protected	fft_rtc_back_len135_factors_5_3_3_3_wgs_126_tpt_9_halfLds_half_ip_CI_sbrr_dirReg ; -- Begin function fft_rtc_back_len135_factors_5_3_3_3_wgs_126_tpt_9_halfLds_half_ip_CI_sbrr_dirReg
	.globl	fft_rtc_back_len135_factors_5_3_3_3_wgs_126_tpt_9_halfLds_half_ip_CI_sbrr_dirReg
	.p2align	8
	.type	fft_rtc_back_len135_factors_5_3_3_3_wgs_126_tpt_9_halfLds_half_ip_CI_sbrr_dirReg,@function
fft_rtc_back_len135_factors_5_3_3_3_wgs_126_tpt_9_halfLds_half_ip_CI_sbrr_dirReg: ; @fft_rtc_back_len135_factors_5_3_3_3_wgs_126_tpt_9_halfLds_half_ip_CI_sbrr_dirReg
; %bb.0:
	s_clause 0x1
	s_load_dwordx2 s[14:15], s[4:5], 0x18
	s_load_dwordx4 s[8:11], s[4:5], 0x0
	v_mul_u32_u24_e32 v1, 0x1c72, v0
	v_mov_b32_e32 v6, 0
	v_mov_b32_e32 v4, 0
	v_mov_b32_e32 v5, 0
	s_load_dwordx2 s[12:13], s[4:5], 0x50
	s_waitcnt lgkmcnt(0)
	s_load_dwordx2 s[2:3], s[14:15], 0x0
	v_lshrrev_b32_e32 v1, 16, v1
	v_cmp_lt_u64_e64 s0, s[10:11], 2
	v_mad_u64_u32 v[2:3], null, s6, 14, v[1:2]
	v_mov_b32_e32 v3, v6
	s_and_b32 vcc_lo, exec_lo, s0
	v_mov_b32_e32 v11, v3
	v_mov_b32_e32 v10, v2
	s_cbranch_vccnz .LBB0_8
; %bb.1:
	s_load_dwordx2 s[0:1], s[4:5], 0x10
	v_mov_b32_e32 v4, 0
	v_mov_b32_e32 v9, v3
	s_add_u32 s6, s14, 8
	v_mov_b32_e32 v5, 0
	v_mov_b32_e32 v8, v2
	s_addc_u32 s7, s15, 0
	s_mov_b64 s[18:19], 1
	s_waitcnt lgkmcnt(0)
	s_add_u32 s16, s0, 8
	s_addc_u32 s17, s1, 0
.LBB0_2:                                ; =>This Inner Loop Header: Depth=1
	s_load_dwordx2 s[20:21], s[16:17], 0x0
                                        ; implicit-def: $vgpr10_vgpr11
	s_mov_b32 s0, exec_lo
	s_waitcnt lgkmcnt(0)
	v_or_b32_e32 v7, s21, v9
	v_cmpx_ne_u64_e32 0, v[6:7]
	s_xor_b32 s1, exec_lo, s0
	s_cbranch_execz .LBB0_4
; %bb.3:                                ;   in Loop: Header=BB0_2 Depth=1
	v_cvt_f32_u32_e32 v1, s20
	v_cvt_f32_u32_e32 v3, s21
	s_sub_u32 s0, 0, s20
	s_subb_u32 s22, 0, s21
	v_fmac_f32_e32 v1, 0x4f800000, v3
	v_rcp_f32_e32 v1, v1
	v_mul_f32_e32 v1, 0x5f7ffffc, v1
	v_mul_f32_e32 v3, 0x2f800000, v1
	v_trunc_f32_e32 v3, v3
	v_fmac_f32_e32 v1, 0xcf800000, v3
	v_cvt_u32_f32_e32 v3, v3
	v_cvt_u32_f32_e32 v1, v1
	v_mul_lo_u32 v7, s0, v3
	v_mul_hi_u32 v10, s0, v1
	v_mul_lo_u32 v11, s22, v1
	v_add_nc_u32_e32 v7, v10, v7
	v_mul_lo_u32 v10, s0, v1
	v_add_nc_u32_e32 v7, v7, v11
	v_mul_hi_u32 v11, v1, v10
	v_mul_lo_u32 v12, v1, v7
	v_mul_hi_u32 v13, v1, v7
	v_mul_hi_u32 v14, v3, v10
	v_mul_lo_u32 v10, v3, v10
	v_mul_hi_u32 v15, v3, v7
	v_mul_lo_u32 v7, v3, v7
	v_add_co_u32 v11, vcc_lo, v11, v12
	v_add_co_ci_u32_e32 v12, vcc_lo, 0, v13, vcc_lo
	v_add_co_u32 v10, vcc_lo, v11, v10
	v_add_co_ci_u32_e32 v10, vcc_lo, v12, v14, vcc_lo
	v_add_co_ci_u32_e32 v11, vcc_lo, 0, v15, vcc_lo
	v_add_co_u32 v7, vcc_lo, v10, v7
	v_add_co_ci_u32_e32 v10, vcc_lo, 0, v11, vcc_lo
	v_add_co_u32 v1, vcc_lo, v1, v7
	v_add_co_ci_u32_e32 v3, vcc_lo, v3, v10, vcc_lo
	v_mul_hi_u32 v7, s0, v1
	v_mul_lo_u32 v11, s22, v1
	v_mul_lo_u32 v10, s0, v3
	v_add_nc_u32_e32 v7, v7, v10
	v_mul_lo_u32 v10, s0, v1
	v_add_nc_u32_e32 v7, v7, v11
	v_mul_hi_u32 v11, v1, v10
	v_mul_lo_u32 v12, v1, v7
	v_mul_hi_u32 v13, v1, v7
	v_mul_hi_u32 v14, v3, v10
	v_mul_lo_u32 v10, v3, v10
	v_mul_hi_u32 v15, v3, v7
	v_mul_lo_u32 v7, v3, v7
	v_add_co_u32 v11, vcc_lo, v11, v12
	v_add_co_ci_u32_e32 v12, vcc_lo, 0, v13, vcc_lo
	v_add_co_u32 v10, vcc_lo, v11, v10
	v_add_co_ci_u32_e32 v10, vcc_lo, v12, v14, vcc_lo
	v_add_co_ci_u32_e32 v11, vcc_lo, 0, v15, vcc_lo
	v_add_co_u32 v7, vcc_lo, v10, v7
	v_add_co_ci_u32_e32 v10, vcc_lo, 0, v11, vcc_lo
	v_add_co_u32 v1, vcc_lo, v1, v7
	v_add_co_ci_u32_e32 v3, vcc_lo, v3, v10, vcc_lo
	v_mul_hi_u32 v7, v8, v1
	v_mad_u64_u32 v[12:13], null, v9, v1, 0
	v_mad_u64_u32 v[10:11], null, v8, v3, 0
	v_mad_u64_u32 v[14:15], null, v9, v3, 0
	v_add_co_u32 v1, vcc_lo, v7, v10
	v_add_co_ci_u32_e32 v3, vcc_lo, 0, v11, vcc_lo
	v_add_co_u32 v1, vcc_lo, v1, v12
	v_add_co_ci_u32_e32 v1, vcc_lo, v3, v13, vcc_lo
	v_add_co_ci_u32_e32 v3, vcc_lo, 0, v15, vcc_lo
	v_add_co_u32 v1, vcc_lo, v1, v14
	v_add_co_ci_u32_e32 v3, vcc_lo, 0, v3, vcc_lo
	v_mul_lo_u32 v7, s21, v1
	v_mad_u64_u32 v[10:11], null, s20, v1, 0
	v_mul_lo_u32 v12, s20, v3
	v_sub_co_u32 v10, vcc_lo, v8, v10
	v_add3_u32 v7, v11, v12, v7
	v_sub_nc_u32_e32 v11, v9, v7
	v_subrev_co_ci_u32_e64 v11, s0, s21, v11, vcc_lo
	v_add_co_u32 v12, s0, v1, 2
	v_add_co_ci_u32_e64 v13, s0, 0, v3, s0
	v_sub_co_u32 v14, s0, v10, s20
	v_sub_co_ci_u32_e32 v7, vcc_lo, v9, v7, vcc_lo
	v_subrev_co_ci_u32_e64 v11, s0, 0, v11, s0
	v_cmp_le_u32_e32 vcc_lo, s20, v14
	v_cmp_eq_u32_e64 s0, s21, v7
	v_cndmask_b32_e64 v14, 0, -1, vcc_lo
	v_cmp_le_u32_e32 vcc_lo, s21, v11
	v_cndmask_b32_e64 v15, 0, -1, vcc_lo
	v_cmp_le_u32_e32 vcc_lo, s20, v10
	;; [unrolled: 2-line block ×3, first 2 shown]
	v_cndmask_b32_e64 v16, 0, -1, vcc_lo
	v_cmp_eq_u32_e32 vcc_lo, s21, v11
	v_cndmask_b32_e64 v7, v16, v10, s0
	v_cndmask_b32_e32 v11, v15, v14, vcc_lo
	v_add_co_u32 v14, vcc_lo, v1, 1
	v_add_co_ci_u32_e32 v15, vcc_lo, 0, v3, vcc_lo
	v_cmp_ne_u32_e32 vcc_lo, 0, v11
	v_cndmask_b32_e32 v10, v15, v13, vcc_lo
	v_cndmask_b32_e32 v12, v14, v12, vcc_lo
	v_cmp_ne_u32_e32 vcc_lo, 0, v7
	v_cndmask_b32_e32 v11, v3, v10, vcc_lo
	v_cndmask_b32_e32 v10, v1, v12, vcc_lo
.LBB0_4:                                ;   in Loop: Header=BB0_2 Depth=1
	s_andn2_saveexec_b32 s0, s1
	s_cbranch_execz .LBB0_6
; %bb.5:                                ;   in Loop: Header=BB0_2 Depth=1
	v_cvt_f32_u32_e32 v1, s20
	s_sub_i32 s1, 0, s20
	v_mov_b32_e32 v11, v6
	v_rcp_iflag_f32_e32 v1, v1
	v_mul_f32_e32 v1, 0x4f7ffffe, v1
	v_cvt_u32_f32_e32 v1, v1
	v_mul_lo_u32 v3, s1, v1
	v_mul_hi_u32 v3, v1, v3
	v_add_nc_u32_e32 v1, v1, v3
	v_mul_hi_u32 v1, v8, v1
	v_mul_lo_u32 v3, v1, s20
	v_add_nc_u32_e32 v7, 1, v1
	v_sub_nc_u32_e32 v3, v8, v3
	v_subrev_nc_u32_e32 v10, s20, v3
	v_cmp_le_u32_e32 vcc_lo, s20, v3
	v_cndmask_b32_e32 v3, v3, v10, vcc_lo
	v_cndmask_b32_e32 v1, v1, v7, vcc_lo
	v_cmp_le_u32_e32 vcc_lo, s20, v3
	v_add_nc_u32_e32 v7, 1, v1
	v_cndmask_b32_e32 v10, v1, v7, vcc_lo
.LBB0_6:                                ;   in Loop: Header=BB0_2 Depth=1
	s_or_b32 exec_lo, exec_lo, s0
	s_load_dwordx2 s[0:1], s[6:7], 0x0
	v_mul_lo_u32 v1, v11, s20
	v_mul_lo_u32 v3, v10, s21
	v_mad_u64_u32 v[12:13], null, v10, s20, 0
	s_add_u32 s18, s18, 1
	s_addc_u32 s19, s19, 0
	s_add_u32 s6, s6, 8
	s_addc_u32 s7, s7, 0
	s_add_u32 s16, s16, 8
	s_addc_u32 s17, s17, 0
	v_add3_u32 v1, v13, v3, v1
	v_sub_co_u32 v3, vcc_lo, v8, v12
	v_sub_co_ci_u32_e32 v1, vcc_lo, v9, v1, vcc_lo
	s_waitcnt lgkmcnt(0)
	v_mul_lo_u32 v7, s1, v3
	v_mul_lo_u32 v1, s0, v1
	v_mad_u64_u32 v[4:5], null, s0, v3, v[4:5]
	v_cmp_ge_u64_e64 s0, s[18:19], s[10:11]
	s_and_b32 vcc_lo, exec_lo, s0
	v_add3_u32 v5, v7, v5, v1
	s_cbranch_vccnz .LBB0_8
; %bb.7:                                ;   in Loop: Header=BB0_2 Depth=1
	v_mov_b32_e32 v8, v10
	v_mov_b32_e32 v9, v11
	s_branch .LBB0_2
.LBB0_8:
	s_lshl_b64 s[0:1], s[10:11], 3
	v_mul_hi_u32 v1, 0x1c71c71d, v0
	s_add_u32 s0, s14, s0
	s_addc_u32 s1, s15, s1
	s_load_dwordx2 s[4:5], s[4:5], 0x20
	s_load_dwordx2 s[0:1], s[0:1], 0x0
                                        ; implicit-def: $vgpr22
                                        ; implicit-def: $vgpr9
                                        ; implicit-def: $vgpr7
                                        ; implicit-def: $vgpr8
	v_mul_u32_u24_e32 v1, 9, v1
	v_sub_nc_u32_e32 v16, v0, v1
	v_add_nc_u32_e32 v17, 9, v16
	v_add_nc_u32_e32 v13, 18, v16
	;; [unrolled: 1-line block ×4, first 2 shown]
	s_waitcnt lgkmcnt(0)
	v_cmp_gt_u64_e32 vcc_lo, s[4:5], v[10:11]
	v_mul_lo_u32 v3, s0, v11
	v_mul_lo_u32 v6, s1, v10
	v_mad_u64_u32 v[0:1], null, s0, v10, v[4:5]
	v_cmp_le_u64_e64 s0, s[4:5], v[10:11]
	v_add3_u32 v1, v6, v1, v3
	s_and_saveexec_b32 s1, s0
	s_xor_b32 s0, exec_lo, s1
; %bb.9:
	v_add_nc_u32_e32 v22, 9, v16
	v_add_nc_u32_e32 v9, 18, v16
	;; [unrolled: 1-line block ×4, first 2 shown]
; %bb.10:
	s_or_saveexec_b32 s1, s0
	v_lshlrev_b64 v[0:1], 2, v[0:1]
	v_add_nc_u32_e32 v19, 54, v16
	v_add_nc_u32_e32 v20, 0x5a, v16
	;; [unrolled: 1-line block ×4, first 2 shown]
                                        ; implicit-def: $vgpr10
                                        ; implicit-def: $vgpr27
                                        ; implicit-def: $vgpr11
                                        ; implicit-def: $vgpr25
                                        ; implicit-def: $vgpr23
                                        ; implicit-def: $vgpr26
                                        ; implicit-def: $vgpr24
                                        ; implicit-def: $vgpr28
                                        ; implicit-def: $vgpr12
                                        ; implicit-def: $vgpr6
                                        ; implicit-def: $vgpr34
                                        ; implicit-def: $vgpr37
                                        ; implicit-def: $vgpr33
                                        ; implicit-def: $vgpr29
                                        ; implicit-def: $vgpr35
                                        ; implicit-def: $vgpr30
                                        ; implicit-def: $vgpr36
                                        ; implicit-def: $vgpr31
                                        ; implicit-def: $vgpr3
                                        ; implicit-def: $vgpr4
                                        ; implicit-def: $vgpr42
                                        ; implicit-def: $vgpr40
                                        ; implicit-def: $vgpr43
                                        ; implicit-def: $vgpr38
                                        ; implicit-def: $vgpr44
                                        ; implicit-def: $vgpr39
                                        ; implicit-def: $vgpr45
                                        ; implicit-def: $vgpr41
                                        ; implicit-def: $vgpr32
                                        ; implicit-def: $vgpr5
	s_xor_b32 exec_lo, exec_lo, s1
	s_cbranch_execz .LBB0_12
; %bb.11:
	v_mad_u64_u32 v[3:4], null, s2, v16, 0
	v_mad_u64_u32 v[5:6], null, s2, v14, 0
	v_add_nc_u32_e32 v12, 0x51, v16
	v_add_co_u32 v48, s0, s12, v0
	v_add_nc_u32_e32 v27, 0x6c, v16
	v_add_co_ci_u32_e64 v49, s0, s13, v1, s0
	v_mad_u64_u32 v[7:8], null, s3, v16, v[4:5]
	v_mov_b32_e32 v4, v6
	v_mad_u64_u32 v[8:9], null, s2, v19, 0
	v_mad_u64_u32 v[10:11], null, s2, v12, 0
	;; [unrolled: 1-line block ×3, first 2 shown]
	v_mov_b32_e32 v4, v7
	v_mad_u64_u32 v[42:43], null, s2, v13, 0
	v_mov_b32_e32 v7, v9
	v_mad_u64_u32 v[44:45], null, s2, v21, 0
	v_mov_b32_e32 v6, v22
	v_lshlrev_b64 v[3:4], 2, v[3:4]
	v_mad_u64_u32 v[22:23], null, s3, v19, v[7:8]
	v_mov_b32_e32 v7, v11
	v_lshlrev_b64 v[5:6], 2, v[5:6]
	v_mad_u64_u32 v[23:24], null, s2, v27, 0
	v_add_co_u32 v3, s0, v48, v3
	v_mov_b32_e32 v9, v22
	v_add_co_ci_u32_e64 v4, s0, v49, v4, s0
	v_add_co_u32 v25, s0, v48, v5
	v_mad_u64_u32 v[11:12], null, s3, v12, v[7:8]
	v_add_co_ci_u32_e64 v26, s0, v49, v6, s0
	v_lshlrev_b64 v[5:6], 2, v[8:9]
	v_mad_u64_u32 v[8:9], null, s2, v17, 0
	v_mov_b32_e32 v7, v24
	v_add_nc_u32_e32 v12, 63, v16
	v_add_co_u32 v30, s0, v48, v5
	v_add_co_ci_u32_e64 v31, s0, v49, v6, s0
	v_mad_u64_u32 v[27:28], null, s3, v27, v[7:8]
	v_mad_u64_u32 v[28:29], null, s2, v15, 0
	v_lshlrev_b64 v[6:7], 2, v[10:11]
	v_mov_b32_e32 v5, v9
	v_mov_b32_e32 v24, v27
	v_mad_u64_u32 v[9:10], null, s3, v17, v[5:6]
	v_mov_b32_e32 v5, v29
	v_add_co_u32 v6, s0, v48, v6
	v_mad_u64_u32 v[10:11], null, s2, v12, 0
	v_lshlrev_b64 v[22:23], 2, v[23:24]
	v_mad_u64_u32 v[32:33], null, s3, v15, v[5:6]
	v_mad_u64_u32 v[33:34], null, s2, v20, 0
	v_lshlrev_b64 v[8:9], 2, v[8:9]
	v_mov_b32_e32 v5, v11
	v_add_co_ci_u32_e64 v7, s0, v49, v7, s0
	v_mov_b32_e32 v29, v32
	v_add_co_u32 v22, s0, v48, v22
	v_mad_u64_u32 v[11:12], null, s3, v12, v[5:6]
	v_mov_b32_e32 v5, v34
	v_add_nc_u32_e32 v12, 0x75, v16
	v_lshlrev_b64 v[27:28], 2, v[28:29]
	v_add_co_ci_u32_e64 v23, s0, v49, v23, s0
	v_mad_u64_u32 v[34:35], null, s3, v20, v[5:6]
	v_mad_u64_u32 v[35:36], null, s2, v12, 0
	v_add_co_u32 v8, s0, v48, v8
	v_lshlrev_b64 v[10:11], 2, v[10:11]
	v_add_co_ci_u32_e64 v9, s0, v49, v9, s0
	v_add_co_u32 v27, s0, v48, v27
	v_mov_b32_e32 v5, v36
	v_add_co_ci_u32_e64 v28, s0, v49, v28, s0
	v_add_co_u32 v10, s0, v48, v10
	v_mad_u64_u32 v[36:37], null, s3, v12, v[5:6]
	v_mov_b32_e32 v5, v43
	v_add_co_ci_u32_e64 v11, s0, v49, v11, s0
	v_add_nc_u32_e32 v12, 0x48, v16
	v_lshlrev_b64 v[32:33], 2, v[33:34]
	v_mad_u64_u32 v[37:38], null, s3, v13, v[5:6]
	s_clause 0x7
	global_load_dword v5, v[3:4], off
	global_load_dword v41, v[25:26], off
	;; [unrolled: 1-line block ×8, first 2 shown]
	v_mad_u64_u32 v[46:47], null, s2, v12, 0
	v_mov_b32_e32 v3, v45
	v_add_nc_u32_e32 v26, 0x7e, v16
	v_lshlrev_b64 v[6:7], 2, v[35:36]
	v_mov_b32_e32 v43, v37
	v_add_co_u32 v32, s0, v48, v32
	v_mad_u64_u32 v[22:23], null, s2, v26, 0
	v_lshlrev_b64 v[24:25], 2, v[42:43]
	v_add_co_ci_u32_e64 v33, s0, v49, v33, s0
	v_add_co_u32 v6, s0, v48, v6
	v_add_co_ci_u32_e64 v7, s0, v49, v7, s0
	global_load_dword v29, v[32:33], off
	s_waitcnt vmcnt(5)
	v_lshrrev_b32_e32 v43, 16, v38
	s_waitcnt vmcnt(4)
	v_lshrrev_b32_e32 v42, 16, v40
	s_waitcnt vmcnt(3)
	v_mad_u64_u32 v[8:9], null, s3, v21, v[3:4]
	v_mov_b32_e32 v3, v47
	v_mad_u64_u32 v[9:10], null, s2, v18, 0
	s_waitcnt vmcnt(2)
	v_lshrrev_b32_e32 v36, 16, v31
	s_waitcnt vmcnt(1)
	v_lshrrev_b32_e32 v35, 16, v30
	v_mad_u64_u32 v[11:12], null, s3, v12, v[3:4]
	v_mov_b32_e32 v45, v8
	v_mov_b32_e32 v3, v10
	v_mov_b32_e32 v47, v11
	v_mad_u64_u32 v[10:11], null, s3, v18, v[3:4]
	v_mov_b32_e32 v3, v23
	v_add_co_u32 v11, s0, v48, v24
	v_add_co_ci_u32_e64 v12, s0, v49, v25, s0
	v_mad_u64_u32 v[25:26], null, s3, v26, v[3:4]
	v_lshlrev_b64 v[23:24], 2, v[44:45]
	v_lshlrev_b64 v[26:27], 2, v[46:47]
	;; [unrolled: 1-line block ×3, first 2 shown]
	v_lshrrev_b32_e32 v45, 16, v41
	v_lshrrev_b32_e32 v44, 16, v39
	;; [unrolled: 1-line block ×3, first 2 shown]
	v_add_co_u32 v32, s0, v48, v23
	v_mov_b32_e32 v23, v25
	v_add_co_ci_u32_e64 v33, s0, v49, v24, s0
	v_add_co_u32 v24, s0, v48, v26
	v_lshlrev_b64 v[22:23], 2, v[22:23]
	v_add_co_ci_u32_e64 v25, s0, v49, v27, s0
	v_add_co_u32 v8, s0, v48, v8
	v_add_co_ci_u32_e64 v9, s0, v49, v9, s0
	v_add_co_u32 v22, s0, v48, v22
	v_add_co_ci_u32_e64 v23, s0, v49, v23, s0
	s_clause 0x5
	global_load_dword v37, v[6:7], off
	global_load_dword v6, v[11:12], off
	;; [unrolled: 1-line block ×6, first 2 shown]
	v_mov_b32_e32 v8, v15
	v_mov_b32_e32 v7, v14
	;; [unrolled: 1-line block ×3, first 2 shown]
	v_lshrrev_b32_e32 v32, 16, v5
	s_waitcnt vmcnt(6)
	v_lshrrev_b32_e32 v33, 16, v29
	v_mov_b32_e32 v22, v17
	s_waitcnt vmcnt(5)
	v_lshrrev_b32_e32 v34, 16, v37
	s_waitcnt vmcnt(4)
	v_lshrrev_b32_e32 v12, 16, v6
	;; [unrolled: 2-line block ×6, first 2 shown]
.LBB0_12:
	s_or_b32 exec_lo, exec_lo, s1
	v_lshrrev_b32_e32 v46, 1, v2
	v_add_f16_e32 v47, v41, v5
	v_add_f16_e32 v48, v38, v39
	v_sub_f16_e32 v49, v45, v42
	v_sub_f16_e32 v51, v41, v39
	v_mul_hi_u32 v46, 0x92492493, v46
	v_sub_f16_e32 v52, v40, v38
	v_add_f16_e32 v53, v40, v41
	v_fma_f16 v48, -0.5, v48, v5
	v_add_f16_e32 v47, v39, v47
	v_sub_f16_e32 v50, v44, v43
	v_sub_f16_e32 v54, v39, v41
	;; [unrolled: 1-line block ×3, first 2 shown]
	v_lshrrev_b32_e32 v46, 2, v46
	v_add_f16_e32 v56, v45, v32
	v_add_f16_e32 v57, v43, v44
	;; [unrolled: 1-line block ×3, first 2 shown]
	v_fmac_f16_e32 v5, -0.5, v53
	v_mul_lo_u32 v46, v46, 14
	v_fmamk_f16 v52, v49, 0xbb9c, v48
	v_fmac_f16_e32 v48, 0x3b9c, v49
	v_add_f16_e32 v47, v38, v47
	v_add_f16_e32 v53, v55, v54
	v_fma_f16 v54, -0.5, v57, v32
	v_fmac_f16_e32 v52, 0xb8b4, v50
	v_fmac_f16_e32 v48, 0x38b4, v50
	v_sub_nc_u32_e32 v2, v2, v46
	v_fmamk_f16 v46, v50, 0x3b9c, v5
	v_add_f16_e32 v47, v40, v47
	v_sub_f16_e32 v40, v41, v40
	v_fmac_f16_e32 v5, 0xbb9c, v50
	v_add_f16_e32 v50, v44, v56
	v_add_f16_e32 v55, v42, v45
	v_fmac_f16_e32 v52, 0x34f2, v51
	v_fmac_f16_e32 v48, 0x34f2, v51
	v_mul_f16_e32 v41, 0x34f2, v53
	v_fmamk_f16 v51, v40, 0x3b9c, v54
	v_sub_f16_e32 v38, v39, v38
	v_sub_f16_e32 v39, v45, v44
	;; [unrolled: 1-line block ×3, first 2 shown]
	v_fmac_f16_e32 v54, 0xbb9c, v40
	v_add_f16_e32 v50, v43, v50
	v_fmac_f16_e32 v32, -0.5, v55
	v_fmac_f16_e32 v46, 0xb8b4, v49
	v_fmac_f16_e32 v51, 0x38b4, v38
	v_add_f16_e32 v39, v53, v39
	v_fmac_f16_e32 v54, 0xb8b4, v38
	v_fmac_f16_e32 v5, 0x38b4, v49
	v_add_f16_e32 v49, v42, v50
	v_fmamk_f16 v50, v38, 0xbb9c, v32
	v_sub_f16_e32 v44, v44, v45
	v_sub_f16_e32 v42, v43, v42
	v_fmac_f16_e32 v32, 0x3b9c, v38
	v_sub_f16_e32 v53, v31, v30
	v_sub_f16_e32 v55, v37, v29
	v_fmac_f16_e32 v51, 0x34f2, v39
	v_fmac_f16_e32 v54, 0x34f2, v39
	v_add_f16_e32 v39, v29, v30
	v_add_f16_e32 v43, v31, v4
	v_fmac_f16_e32 v50, 0x38b4, v40
	v_add_f16_e32 v42, v42, v44
	v_fmac_f16_e32 v32, 0xb8b4, v40
	v_add_f16_e32 v40, v55, v53
	v_add_f16_e32 v53, v37, v31
	v_fma_f16 v39, -0.5, v39, v4
	v_sub_f16_e32 v45, v36, v34
	v_add_f16_e32 v38, v30, v43
	v_fmac_f16_e32 v50, 0x34f2, v42
	v_fmac_f16_e32 v32, 0x34f2, v42
	v_fmac_f16_e32 v4, -0.5, v53
	v_sub_f16_e32 v42, v30, v31
	v_sub_f16_e32 v53, v29, v37
	v_add_f16_e32 v55, v36, v3
	v_fmamk_f16 v43, v45, 0xbb9c, v39
	v_sub_f16_e32 v44, v35, v33
	v_add_f16_e32 v38, v29, v38
	v_fmac_f16_e32 v39, 0x3b9c, v45
	v_add_f16_e32 v42, v53, v42
	v_add_f16_e32 v53, v35, v55
	v_fmac_f16_e32 v43, 0xb8b4, v44
	v_add_f16_e32 v38, v37, v38
	v_fmac_f16_e32 v39, 0x38b4, v44
	v_add_f16_e32 v56, v33, v35
	v_sub_f16_e32 v31, v31, v37
	v_mul_f16_e32 v37, 0x34f2, v42
	v_add_f16_e32 v42, v33, v53
	v_add_f16_e32 v53, v34, v36
	v_fmac_f16_e32 v43, 0x34f2, v40
	v_fmac_f16_e32 v39, 0x34f2, v40
	v_fmamk_f16 v40, v44, 0x3b9c, v4
	v_fma_f16 v55, -0.5, v56, v3
	v_fmac_f16_e32 v4, 0xbb9c, v44
	v_sub_f16_e32 v29, v30, v29
	v_fmac_f16_e32 v3, -0.5, v53
	v_fmac_f16_e32 v40, 0xb8b4, v45
	v_fmamk_f16 v44, v31, 0x3b9c, v55
	v_sub_f16_e32 v30, v36, v35
	v_sub_f16_e32 v56, v34, v33
	v_fmac_f16_e32 v4, 0x38b4, v45
	v_add_f16_e32 v53, v34, v42
	v_fmac_f16_e32 v55, 0xbb9c, v31
	v_fmamk_f16 v45, v29, 0xbb9c, v3
	v_sub_f16_e32 v35, v35, v36
	v_sub_f16_e32 v33, v33, v34
	v_add_f16_e32 v34, v25, v26
	v_fmac_f16_e32 v3, 0x3b9c, v29
	v_fmac_f16_e32 v44, 0x38b4, v29
	v_add_f16_e32 v30, v56, v30
	v_fmac_f16_e32 v55, 0xb8b4, v29
	v_fmac_f16_e32 v45, 0x38b4, v31
	v_add_f16_e32 v33, v33, v35
	v_add_f16_e32 v35, v28, v6
	v_fma_f16 v34, -0.5, v34, v6
	v_sub_f16_e32 v36, v24, v10
	v_fmac_f16_e32 v3, 0xb8b4, v31
	v_add_f16_e32 v31, v27, v28
	v_fmac_f16_e32 v44, 0x34f2, v30
	v_fmac_f16_e32 v55, 0x34f2, v30
	v_add_f16_e32 v29, v26, v35
	v_fmamk_f16 v30, v36, 0xbb9c, v34
	v_sub_f16_e32 v35, v23, v11
	v_fmac_f16_e32 v34, 0x3b9c, v36
	v_fmac_f16_e32 v6, -0.5, v31
	v_add_f16_e32 v31, v11, v23
	v_add_f16_e32 v58, v24, v12
	v_fmac_f16_e32 v45, 0x34f2, v33
	v_sub_f16_e32 v42, v28, v26
	v_sub_f16_e32 v56, v27, v25
	v_fmac_f16_e32 v30, 0xb8b4, v35
	v_fmac_f16_e32 v3, 0x34f2, v33
	;; [unrolled: 1-line block ×3, first 2 shown]
	v_fmamk_f16 v33, v35, 0x3b9c, v6
	v_fma_f16 v59, -0.5, v31, v12
	v_add_f16_e32 v31, v23, v58
	v_fmac_f16_e32 v6, 0xbb9c, v35
	v_add_f16_e32 v35, v10, v24
	v_add_f16_e32 v29, v25, v29
	v_mul_u32_u24_e32 v2, 0x87, v2
	v_add_f16_e32 v42, v56, v42
	v_sub_f16_e32 v56, v26, v28
	v_sub_f16_e32 v57, v25, v27
	;; [unrolled: 1-line block ×3, first 2 shown]
	v_add_f16_e32 v31, v11, v31
	v_fmac_f16_e32 v12, -0.5, v35
	v_add_f16_e32 v29, v27, v29
	v_sub_f16_e32 v27, v28, v27
	v_fmac_f16_e32 v30, 0x34f2, v42
	v_fmac_f16_e32 v34, 0x34f2, v42
	v_add_f16_e32 v28, v57, v56
	v_sub_f16_e32 v26, v24, v23
	v_sub_f16_e32 v42, v10, v11
	v_add_f16_e32 v57, v10, v31
	v_fmamk_f16 v58, v25, 0xbb9c, v12
	v_sub_f16_e32 v23, v23, v24
	v_sub_f16_e32 v11, v11, v10
	v_fmac_f16_e32 v12, 0x3b9c, v25
	v_lshlrev_b32_e32 v10, 1, v2
	v_fmac_f16_e32 v33, 0xb8b4, v36
	v_fmamk_f16 v56, v27, 0x3b9c, v59
	v_fmac_f16_e32 v6, 0x38b4, v36
	v_fmac_f16_e32 v59, 0xbb9c, v27
	;; [unrolled: 1-line block ×3, first 2 shown]
	v_add_f16_e32 v2, v11, v23
	v_fmac_f16_e32 v12, 0xb8b4, v27
	v_add_nc_u32_e32 v11, 0, v10
	v_pack_b32_f16 v5, v46, v5
	v_pack_b32_f16 v23, v40, v4
	v_fmac_f16_e32 v56, 0x38b4, v25
	v_add_f16_e32 v26, v42, v26
	v_mul_f16_e32 v28, 0x34f2, v28
	v_fmac_f16_e32 v59, 0xb8b4, v25
	v_pack_b32_f16 v6, v33, v6
	v_fmac_f16_e32 v58, 0x34f2, v2
	v_fmac_f16_e32 v12, 0x34f2, v2
	v_mad_u32_u24 v2, v16, 10, v11
	v_pk_add_f16 v5, v41, v5 op_sel_hi:[0,1]
	v_pack_b32_f16 v4, v47, v52
	v_mad_i32_i24 v46, v22, 10, v11
	v_pk_add_f16 v24, v37, v23 op_sel_hi:[0,1]
	v_pack_b32_f16 v23, v38, v43
	v_fmac_f16_e32 v56, 0x34f2, v26
	v_fmac_f16_e32 v59, 0x34f2, v26
	v_mad_i32_i24 v47, v9, 10, v11
	v_pk_add_f16 v26, v28, v6 op_sel_hi:[0,1]
	v_pack_b32_f16 v25, v29, v30
	ds_write_b64 v2, v[4:5]
	ds_write_b16 v2, v48 offset:8
	ds_write_b64 v46, v[23:24]
	ds_write_b16 v46, v39 offset:8
	ds_write_b64 v47, v[25:26]
	v_lshlrev_b32_e32 v4, 1, v16
	v_add_nc_u32_e32 v48, -5, v16
	v_cmp_gt_u32_e64 s0, 5, v16
	v_lshlrev_b32_e32 v5, 3, v22
	v_lshlrev_b32_e32 v6, 3, v9
	v_add_nc_u32_e32 v24, v11, v4
	v_pack_b32_f16 v33, v50, v32
	v_pack_b32_f16 v32, v49, v51
	;; [unrolled: 1-line block ×3, first 2 shown]
	v_cndmask_b32_e64 v3, v48, v16, s0
	v_and_b32_e32 v48, 0xff, v22
	v_add3_u32 v23, 0, v4, v10
	ds_write_b16 v47, v34 offset:8
	s_waitcnt lgkmcnt(0)
	s_barrier
	buffer_gl0_inv
	v_sub_nc_u32_e32 v25, v46, v5
	v_sub_nc_u32_e32 v26, v47, v6
	v_lshl_add_u32 v27, v7, 1, v11
	v_lshl_add_u32 v28, v8, 1, v11
	ds_read_u16 v29, v24
	ds_read_u16 v42, v23 offset:90
	ds_read_u16 v40, v23 offset:108
	;; [unrolled: 1-line block ×6, first 2 shown]
	ds_read_u16 v6, v27
	ds_read_u16 v5, v28
	ds_read_u16 v41, v23 offset:198
	ds_read_u16 v43, v23 offset:180
	;; [unrolled: 1-line block ×3, first 2 shown]
	ds_read_u16 v30, v26
	ds_read_u16 v31, v25
	ds_read_u16 v39, v23 offset:252
	s_waitcnt lgkmcnt(0)
	s_barrier
	v_pack_b32_f16 v44, v53, v44
	buffer_gl0_inv
	ds_write_b64 v2, v[32:33]
	ds_write_b16 v2, v54 offset:8
	v_pack_b32_f16 v33, v58, v12
	v_mul_lo_u16 v12, 0xcd, v48
	v_pack_b32_f16 v32, v57, v56
	ds_write_b64 v46, v[44:45]
	ds_write_b16 v46, v55 offset:8
	ds_write_b64 v47, v[32:33]
	ds_write_b16 v47, v59 offset:8
	v_lshrrev_b16 v55, 10, v12
	v_lshlrev_b32_e32 v2, 1, v3
	v_mov_b32_e32 v3, 0
	v_and_b32_e32 v48, 0xff, v9
	v_and_b32_e32 v12, 0xff, v7
	v_mul_lo_u16 v33, v55, 5
	s_waitcnt lgkmcnt(0)
	v_lshlrev_b64 v[44:45], 2, v[2:3]
	v_mul_lo_u16 v32, 0xcd, v48
	v_mul_lo_u16 v46, 0xcd, v12
	v_sub_nc_u16 v57, v22, v33
	v_and_b32_e32 v33, 0xff, v8
	s_barrier
	v_add_co_u32 v44, s0, s8, v44
	v_add_co_ci_u32_e64 v45, s0, s9, v45, s0
	v_lshrrev_b16 v56, 10, v32
	v_lshrrev_b16 v58, 10, v46
	v_mul_lo_u16 v48, 0xcd, v33
	buffer_gl0_inv
	global_load_dwordx2 v[45:46], v[44:45], off
	v_mul_lo_u16 v47, v56, 5
	v_mul_lo_u16 v44, v58, 5
	v_lshrrev_b16 v60, 10, v48
	v_mov_b32_e32 v32, 3
	v_and_b32_e32 v55, 0xffff, v55
	v_sub_nc_u16 v59, v9, v47
	v_sub_nc_u16 v61, v7, v44
	v_mul_lo_u16 v44, v60, 5
	v_lshlrev_b32_sdwa v47, v32, v57 dst_sel:DWORD dst_unused:UNUSED_PAD src0_sel:DWORD src1_sel:BYTE_0
	v_and_b32_e32 v56, 0xffff, v56
	v_lshlrev_b32_sdwa v49, v32, v59 dst_sel:DWORD dst_unused:UNUSED_PAD src0_sel:DWORD src1_sel:BYTE_0
	v_lshlrev_b32_sdwa v51, v32, v61 dst_sel:DWORD dst_unused:UNUSED_PAD src0_sel:DWORD src1_sel:BYTE_0
	v_sub_nc_u16 v62, v8, v44
	global_load_dwordx2 v[47:48], v47, s[8:9]
	v_mad_u32_u24 v55, v55, 30, 0
	s_clause 0x1
	global_load_dwordx2 v[49:50], v49, s[8:9]
	global_load_dwordx2 v[51:52], v51, s[8:9]
	v_lshlrev_b32_sdwa v44, v32, v62 dst_sel:DWORD dst_unused:UNUSED_PAD src0_sel:DWORD src1_sel:BYTE_0
	v_cmp_lt_u32_e64 s0, 4, v16
	v_mad_u32_u24 v56, v56, 30, 0
	v_and_b32_e32 v58, 0xffff, v58
	v_and_b32_e32 v60, 0xffff, v60
	global_load_dwordx2 v[53:54], v44, s[8:9]
	v_mov_b32_e32 v44, 1
	v_cndmask_b32_e64 v63, 0, 30, s0
	v_mad_u32_u24 v58, v58, 30, 0
	v_mad_u32_u24 v60, v60, 30, 0
	v_cmp_gt_u32_e64 s0, 6, v16
	v_lshlrev_b32_sdwa v57, v44, v57 dst_sel:DWORD dst_unused:UNUSED_PAD src0_sel:DWORD src1_sel:BYTE_0
	v_lshlrev_b32_sdwa v59, v44, v59 dst_sel:DWORD dst_unused:UNUSED_PAD src0_sel:DWORD src1_sel:BYTE_0
	v_add_nc_u32_e32 v63, 0, v63
	v_lshlrev_b32_sdwa v61, v44, v61 dst_sel:DWORD dst_unused:UNUSED_PAD src0_sel:DWORD src1_sel:BYTE_0
	v_lshlrev_b32_sdwa v62, v44, v62 dst_sel:DWORD dst_unused:UNUSED_PAD src0_sel:DWORD src1_sel:BYTE_0
	v_add3_u32 v55, v55, v57, v10
	ds_read_u16 v57, v23 offset:90
	v_add3_u32 v56, v56, v59, v10
	ds_read_u16 v59, v23 offset:180
	v_add3_u32 v58, v58, v61, v10
	v_add3_u32 v2, v63, v2, v10
	ds_read_u16 v61, v23 offset:108
	ds_read_u16 v63, v23 offset:198
	;; [unrolled: 1-line block ×8, first 2 shown]
	ds_read_u16 v70, v24
	ds_read_u16 v71, v27
	;; [unrolled: 1-line block ×5, first 2 shown]
	s_waitcnt vmcnt(0) lgkmcnt(0)
	s_barrier
	buffer_gl0_inv
	v_mul_lo_u16 v12, 0x89, v12
	v_mul_lo_u16 v33, 0x89, v33
	v_mul_f16_sdwa v75, v57, v45 dst_sel:DWORD dst_unused:UNUSED_PAD src0_sel:DWORD src1_sel:WORD_1
	v_mul_f16_sdwa v76, v42, v45 dst_sel:DWORD dst_unused:UNUSED_PAD src0_sel:DWORD src1_sel:WORD_1
	;; [unrolled: 1-line block ×4, first 2 shown]
	v_fmac_f16_e32 v75, v42, v45
	v_fma_f16 v45, v57, v45, -v76
	v_fmac_f16_e32 v77, v43, v46
	v_fma_f16 v46, v59, v46, -v78
	v_mul_f16_sdwa v79, v61, v47 dst_sel:DWORD dst_unused:UNUSED_PAD src0_sel:DWORD src1_sel:WORD_1
	v_mul_f16_sdwa v80, v40, v47 dst_sel:DWORD dst_unused:UNUSED_PAD src0_sel:DWORD src1_sel:WORD_1
	;; [unrolled: 1-line block ×10, first 2 shown]
	v_fmac_f16_e32 v79, v40, v47
	v_mul_f16_sdwa v40, v35, v52 dst_sel:DWORD dst_unused:UNUSED_PAD src0_sel:DWORD src1_sel:WORD_1
	v_fma_f16 v47, v61, v47, -v80
	v_mul_f16_sdwa v61, v66, v53 dst_sel:DWORD dst_unused:UNUSED_PAD src0_sel:DWORD src1_sel:WORD_1
	v_fmac_f16_e32 v81, v41, v48
	v_fma_f16 v48, v63, v48, -v82
	v_mul_f16_sdwa v63, v69, v54 dst_sel:DWORD dst_unused:UNUSED_PAD src0_sel:DWORD src1_sel:WORD_1
	v_fmac_f16_e32 v83, v37, v49
	v_fmac_f16_e32 v57, v36, v50
	v_mul_f16_sdwa v76, v34, v51 dst_sel:DWORD dst_unused:UNUSED_PAD src0_sel:DWORD src1_sel:WORD_1
	v_mul_f16_sdwa v80, v39, v54 dst_sel:DWORD dst_unused:UNUSED_PAD src0_sel:DWORD src1_sel:WORD_1
	v_fmac_f16_e32 v59, v34, v51
	v_fmac_f16_e32 v78, v35, v52
	v_mul_f16_sdwa v41, v38, v53 dst_sel:DWORD dst_unused:UNUSED_PAD src0_sel:DWORD src1_sel:WORD_1
	v_fma_f16 v37, v64, v49, -v42
	v_fma_f16 v36, v67, v50, -v43
	;; [unrolled: 1-line block ×3, first 2 shown]
	v_fmac_f16_e32 v61, v38, v53
	v_fmac_f16_e32 v63, v39, v54
	v_add_f16_e32 v35, v75, v77
	v_add_f16_e32 v52, v83, v57
	v_fma_f16 v42, v65, v51, -v76
	v_fma_f16 v39, v69, v54, -v80
	v_add_f16_e32 v54, v59, v78
	v_add_f16_e32 v49, v45, v46
	;; [unrolled: 1-line block ×4, first 2 shown]
	v_fma_f16 v38, v66, v53, -v41
	v_add_f16_e32 v43, v70, v45
	v_sub_f16_e32 v45, v45, v46
	v_add_f16_e32 v51, v31, v79
	v_add_f16_e32 v53, v30, v83
	;; [unrolled: 1-line block ×3, first 2 shown]
	v_sub_f16_e32 v68, v37, v36
	v_fmac_f16_e32 v29, -0.5, v35
	v_fmac_f16_e32 v30, -0.5, v52
	v_add_f16_e32 v64, v6, v59
	v_sub_f16_e32 v69, v42, v40
	v_fmac_f16_e32 v6, -0.5, v54
	v_sub_f16_e32 v41, v75, v77
	v_sub_f16_e32 v67, v47, v48
	v_fmac_f16_e32 v70, -0.5, v49
	v_fmac_f16_e32 v31, -0.5, v50
	v_add_f16_e32 v66, v5, v61
	v_add_f16_e32 v34, v34, v77
	v_sub_f16_e32 v75, v38, v39
	v_fmac_f16_e32 v5, -0.5, v65
	v_add_f16_e32 v35, v51, v81
	v_fmamk_f16 v50, v45, 0xbaee, v29
	v_fmamk_f16 v51, v68, 0xbaee, v30
	v_fmac_f16_e32 v30, 0x3aee, v68
	v_add_f16_e32 v49, v64, v78
	v_fmac_f16_e32 v29, 0x3aee, v45
	v_add_f16_e32 v43, v43, v46
	v_fmamk_f16 v52, v69, 0xbaee, v6
	v_fmamk_f16 v45, v41, 0x3aee, v70
	v_fmac_f16_e32 v70, 0xbaee, v41
	v_fmamk_f16 v41, v67, 0xbaee, v31
	v_fmac_f16_e32 v6, 0x3aee, v69
	v_add_f16_e32 v46, v53, v57
	v_fmac_f16_e32 v31, 0x3aee, v67
	ds_write_b16 v2, v34
	ds_write_b16 v2, v50 offset:10
	ds_write_b16 v2, v29 offset:20
	ds_write_b16 v55, v35
	ds_write_b16 v55, v41 offset:10
	ds_write_b16 v55, v31 offset:20
	ds_write_b16 v56, v46
	ds_write_b16 v56, v51 offset:10
	v_add3_u32 v41, v60, v62, v10
	v_add_f16_e32 v29, v66, v63
	v_fmamk_f16 v53, v75, 0xbaee, v5
	v_fmac_f16_e32 v5, 0x3aee, v75
	ds_write_b16 v56, v30 offset:20
	ds_write_b16 v58, v49
	ds_write_b16 v58, v52 offset:10
	ds_write_b16 v58, v6 offset:20
	ds_write_b16 v41, v29
	ds_write_b16 v41, v53 offset:10
	ds_write_b16 v41, v5 offset:20
	v_add_f16_e32 v6, v47, v48
	s_waitcnt lgkmcnt(0)
	s_barrier
	buffer_gl0_inv
	ds_read_u16 v29, v24
	ds_read_u16 v46, v23 offset:90
	ds_read_u16 v49, v23 offset:108
	;; [unrolled: 1-line block ×6, first 2 shown]
	ds_read_u16 v31, v27
	ds_read_u16 v30, v28
	ds_read_u16 v54, v23 offset:198
	ds_read_u16 v60, v23 offset:180
	;; [unrolled: 1-line block ×3, first 2 shown]
	ds_read_u16 v34, v26
	ds_read_u16 v35, v25
	ds_read_u16 v64, v23 offset:252
	s_waitcnt lgkmcnt(0)
	s_barrier
	buffer_gl0_inv
	ds_write_b16 v2, v43
	ds_write_b16 v2, v45 offset:10
	v_add_f16_e32 v43, v73, v37
	v_add_f16_e32 v5, v74, v47
	v_fmac_f16_e32 v74, -0.5, v6
	v_add_f16_e32 v6, v37, v36
	ds_write_b16 v2, v70 offset:20
	v_sub_f16_e32 v2, v79, v81
	v_add_f16_e32 v36, v43, v36
	v_add_f16_e32 v43, v71, v42
	v_sub_f16_e32 v37, v83, v57
	v_fmac_f16_e32 v73, -0.5, v6
	v_add_f16_e32 v5, v5, v48
	v_add_f16_e32 v42, v42, v40
	;; [unrolled: 1-line block ×3, first 2 shown]
	v_fmamk_f16 v43, v2, 0x3aee, v74
	v_fmac_f16_e32 v74, 0xbaee, v2
	v_fmamk_f16 v2, v37, 0x3aee, v73
	v_fmac_f16_e32 v73, 0xbaee, v37
	ds_write_b16 v55, v5
	ds_write_b16 v55, v43 offset:10
	ds_write_b16 v55, v74 offset:20
	ds_write_b16 v56, v36
	ds_write_b16 v56, v2 offset:10
	ds_write_b16 v56, v73 offset:20
	v_add_nc_u32_e32 v2, -6, v16
	v_add_f16_e32 v45, v38, v39
	v_sub_f16_e32 v6, v59, v78
	v_fmac_f16_e32 v71, -0.5, v42
	v_mov_b32_e32 v5, v3
	v_add_f16_e32 v38, v72, v38
	v_cndmask_b32_e64 v2, v2, v22, s0
	v_sub_f16_e32 v42, v61, v63
	v_fmac_f16_e32 v72, -0.5, v45
	v_fmamk_f16 v37, v6, 0x3aee, v71
	v_fmac_f16_e32 v71, 0xbaee, v6
	v_lshlrev_b64 v[5:6], 2, v[4:5]
	v_add_nc_u32_e32 v36, 6, v4
	v_lshrrev_b16 v4, 11, v12
	v_lshrrev_b16 v12, 11, v33
	v_add_f16_e32 v38, v38, v39
	v_lshlrev_b32_e32 v2, 1, v2
	v_fmamk_f16 v39, v42, 0x3aee, v72
	v_fmac_f16_e32 v72, 0xbaee, v42
	v_mul_lo_u16 v12, v12, 15
	ds_write_b16 v58, v40
	ds_write_b16 v58, v37 offset:10
	ds_write_b16 v58, v71 offset:20
	v_mov_b32_e32 v37, v3
	ds_write_b16 v41, v38
	ds_write_b16 v41, v39 offset:10
	ds_write_b16 v41, v72 offset:20
	v_lshlrev_b64 v[38:39], 2, v[2:3]
	v_mul_lo_u16 v33, v4, 15
	v_sub_nc_u16 v12, v8, v12
	v_add_co_u32 v5, s0, s8, v5
	v_lshlrev_b64 v[36:37], 2, v[36:37]
	v_add_co_ci_u32_e64 v6, s0, s9, v6, s0
	v_add_co_u32 v38, s0, s8, v38
	v_sub_nc_u16 v45, v7, v33
	v_and_b32_e32 v12, 0xff, v12
	v_add_co_ci_u32_e64 v39, s0, s9, v39, s0
	v_add_co_u32 v36, s0, s8, v36
	s_waitcnt lgkmcnt(0)
	s_barrier
	buffer_gl0_inv
	global_load_dwordx2 v[40:41], v[5:6], off offset:40
	v_add_co_ci_u32_e64 v37, s0, s9, v37, s0
	v_lshlrev_b32_sdwa v42, v32, v45 dst_sel:DWORD dst_unused:UNUSED_PAD src0_sel:DWORD src1_sel:BYTE_0
	v_lshlrev_b32_e32 v43, 3, v12
	s_clause 0x3
	global_load_dwordx2 v[38:39], v[38:39], off offset:40
	global_load_dwordx2 v[32:33], v[36:37], off offset:40
	global_load_dwordx2 v[36:37], v42, s[8:9] offset:40
	global_load_dwordx2 v[42:43], v43, s[8:9] offset:40
	v_cmp_lt_u32_e64 s0, 5, v16
	v_and_b32_e32 v4, 0xffff, v4
	v_lshlrev_b32_sdwa v44, v44, v45 dst_sel:DWORD dst_unused:UNUSED_PAD src0_sel:DWORD src1_sel:BYTE_0
	v_lshl_add_u32 v11, v12, 1, v11
	v_cndmask_b32_e64 v47, 0, 0x5a, s0
	v_mad_u32_u24 v4, 0x5a, v4, 0
	v_add_nc_u32_e32 v45, 0, v47
	v_add3_u32 v4, v4, v44, v10
	ds_read_u16 v44, v23 offset:90
	v_add3_u32 v2, v45, v2, v10
	ds_read_u16 v10, v23 offset:180
	ds_read_u16 v12, v23 offset:108
	;; [unrolled: 1-line block ×6, first 2 shown]
	ds_read_u16 v56, v24
	ds_read_u16 v57, v23 offset:216
	ds_read_u16 v58, v23 offset:234
	;; [unrolled: 1-line block ×3, first 2 shown]
	ds_read_u16 v61, v27
	ds_read_u16 v63, v28
	;; [unrolled: 1-line block ×4, first 2 shown]
	s_waitcnt vmcnt(0) lgkmcnt(0)
	s_barrier
	buffer_gl0_inv
	v_mul_f16_sdwa v67, v44, v40 dst_sel:DWORD dst_unused:UNUSED_PAD src0_sel:DWORD src1_sel:WORD_1
	v_mul_f16_sdwa v68, v46, v40 dst_sel:DWORD dst_unused:UNUSED_PAD src0_sel:DWORD src1_sel:WORD_1
	;; [unrolled: 1-line block ×11, first 2 shown]
	v_fmac_f16_e32 v67, v46, v40
	v_mul_f16_sdwa v46, v59, v43 dst_sel:DWORD dst_unused:UNUSED_PAD src0_sel:DWORD src1_sel:WORD_1
	v_mul_f16_sdwa v80, v51, v36 dst_sel:DWORD dst_unused:UNUSED_PAD src0_sel:DWORD src1_sel:WORD_1
	v_mul_f16_sdwa v82, v53, v37 dst_sel:DWORD dst_unused:UNUSED_PAD src0_sel:DWORD src1_sel:WORD_1
	v_fma_f16 v40, v44, v40, -v68
	v_mul_f16_sdwa v44, v64, v43 dst_sel:DWORD dst_unused:UNUSED_PAD src0_sel:DWORD src1_sel:WORD_1
	v_fmac_f16_e32 v69, v60, v41
	v_mul_f16_sdwa v72, v49, v38 dst_sel:DWORD dst_unused:UNUSED_PAD src0_sel:DWORD src1_sel:WORD_1
	v_mul_f16_sdwa v74, v54, v39 dst_sel:DWORD dst_unused:UNUSED_PAD src0_sel:DWORD src1_sel:WORD_1
	;; [unrolled: 1-line block ×5, first 2 shown]
	v_fmac_f16_e32 v71, v49, v38
	v_fmac_f16_e32 v73, v54, v39
	v_fmac_f16_e32 v75, v50, v32
	v_fmac_f16_e32 v77, v52, v33
	v_fmac_f16_e32 v79, v51, v36
	v_fmac_f16_e32 v81, v53, v37
	v_fmac_f16_e32 v83, v62, v42
	v_fmac_f16_e32 v46, v64, v43
	v_fma_f16 v10, v10, v41, -v70
	v_fma_f16 v36, v48, v36, -v80
	;; [unrolled: 1-line block ×4, first 2 shown]
	v_add_f16_e32 v43, v67, v69
	v_fma_f16 v12, v12, v38, -v72
	v_fma_f16 v38, v45, v39, -v74
	;; [unrolled: 1-line block ×5, first 2 shown]
	v_add_f16_e32 v49, v71, v73
	v_add_f16_e32 v54, v75, v77
	;; [unrolled: 1-line block ×5, first 2 shown]
	v_sub_f16_e32 v44, v40, v10
	v_sub_f16_e32 v62, v36, v37
	v_add_f16_e32 v64, v61, v36
	v_add_f16_e32 v36, v36, v37
	v_fmac_f16_e32 v29, -0.5, v43
	v_add_f16_e32 v45, v56, v40
	v_add_f16_e32 v40, v40, v10
	v_add_f16_e32 v48, v35, v71
	v_sub_f16_e32 v50, v12, v38
	v_add_f16_e32 v51, v66, v12
	v_sub_f16_e32 v52, v71, v73
	v_add_f16_e32 v53, v34, v75
	;; [unrolled: 2-line block ×3, first 2 shown]
	v_add_f16_e32 v32, v32, v33
	v_add_f16_e32 v59, v31, v79
	;; [unrolled: 1-line block ×3, first 2 shown]
	v_sub_f16_e32 v71, v39, v41
	v_add_f16_e32 v72, v63, v39
	v_add_f16_e32 v39, v39, v41
	v_fmac_f16_e32 v35, -0.5, v49
	v_fmac_f16_e32 v34, -0.5, v54
	;; [unrolled: 1-line block ×4, first 2 shown]
	v_add_f16_e32 v12, v12, v38
	v_add_f16_e32 v42, v42, v69
	v_fmac_f16_e32 v61, -0.5, v36
	v_fmamk_f16 v36, v44, 0xbaee, v29
	v_fmac_f16_e32 v29, 0x3aee, v44
	v_fmac_f16_e32 v56, -0.5, v40
	v_add_f16_e32 v40, v48, v73
	v_sub_f16_e32 v74, v83, v46
	v_add_f16_e32 v10, v45, v10
	v_add_f16_e32 v45, v51, v38
	;; [unrolled: 1-line block ×3, first 2 shown]
	v_fmac_f16_e32 v65, -0.5, v32
	v_add_f16_e32 v32, v59, v81
	v_add_f16_e32 v49, v64, v37
	v_add_f16_e32 v33, v68, v46
	v_add_f16_e32 v46, v72, v41
	v_fmac_f16_e32 v63, -0.5, v39
	v_fmamk_f16 v37, v50, 0xbaee, v35
	v_fmac_f16_e32 v35, 0x3aee, v50
	v_fmamk_f16 v38, v55, 0xbaee, v34
	v_fmac_f16_e32 v34, 0x3aee, v55
	;; [unrolled: 2-line block ×4, first 2 shown]
	v_fmac_f16_e32 v66, -0.5, v12
	v_add_f16_e32 v12, v53, v77
	ds_write_b16 v23, v42
	ds_write_b16 v23, v36 offset:30
	ds_write_b16 v23, v29 offset:60
	ds_write_b16 v2, v40
	ds_write_b16 v2, v37 offset:30
	ds_write_b16 v2, v35 offset:60
	ds_write_b16 v23, v12 offset:96
	ds_write_b16 v23, v38 offset:126
	ds_write_b16 v23, v34 offset:156
	ds_write_b16 v4, v32
	ds_write_b16 v4, v39 offset:30
	ds_write_b16 v4, v31 offset:60
	;; [unrolled: 1-line block ×5, first 2 shown]
	s_waitcnt lgkmcnt(0)
	s_barrier
	buffer_gl0_inv
	ds_read_u16 v29, v24
	ds_read_u16 v34, v23 offset:90
	ds_read_u16 v31, v23 offset:108
	ds_read_u16 v36, v23 offset:126
	ds_read_u16 v40, v23 offset:144
	ds_read_u16 v38, v23 offset:216
	ds_read_u16 v41, v23 offset:234
	ds_read_u16 v35, v27
	ds_read_u16 v39, v28
	ds_read_u16 v33, v23 offset:198
	ds_read_u16 v37, v23 offset:180
	;; [unrolled: 1-line block ×3, first 2 shown]
	ds_read_u16 v32, v26
	ds_read_u16 v30, v25
	ds_read_u16 v43, v23 offset:252
	v_sub_f16_e32 v47, v67, v69
	v_sub_f16_e32 v58, v75, v77
	v_sub_f16_e32 v67, v79, v81
	s_waitcnt lgkmcnt(0)
	s_barrier
	v_fmamk_f16 v44, v47, 0x3aee, v56
	v_fmac_f16_e32 v56, 0xbaee, v47
	v_fmamk_f16 v47, v52, 0x3aee, v66
	v_fmac_f16_e32 v66, 0xbaee, v52
	v_fmamk_f16 v50, v58, 0x3aee, v65
	v_fmac_f16_e32 v65, 0xbaee, v58
	v_fmamk_f16 v51, v67, 0x3aee, v61
	v_fmac_f16_e32 v61, 0xbaee, v67
	v_fmamk_f16 v52, v74, 0x3aee, v63
	v_fmac_f16_e32 v63, 0xbaee, v74
	buffer_gl0_inv
	ds_write_b16 v23, v10
	ds_write_b16 v23, v44 offset:30
	ds_write_b16 v23, v56 offset:60
	ds_write_b16 v2, v45
	ds_write_b16 v2, v47 offset:30
	ds_write_b16 v2, v66 offset:60
	;; [unrolled: 1-line block ×5, first 2 shown]
	ds_write_b16 v4, v49
	ds_write_b16 v4, v51 offset:30
	ds_write_b16 v4, v61 offset:60
	ds_write_b16 v11, v46 offset:180
	ds_write_b16 v11, v52 offset:210
	ds_write_b16 v11, v63 offset:240
	s_waitcnt lgkmcnt(0)
	s_barrier
	buffer_gl0_inv
	s_and_saveexec_b32 s0, vcc_lo
	s_cbranch_execz .LBB0_14
; %bb.13:
	v_lshlrev_b32_e32 v2, 1, v8
	v_mad_u64_u32 v[44:45], null, s2, v16, 0
	v_mad_u64_u32 v[48:49], null, s2, v17, 0
	v_lshlrev_b64 v[10:11], 2, v[2:3]
	v_lshlrev_b32_e32 v2, 1, v7
	v_mad_u64_u32 v[50:51], null, s2, v19, 0
	v_mul_hi_u32 v56, 0x6c16c16d, v13
	v_mad_u64_u32 v[52:53], null, s2, v18, 0
	v_add_co_u32 v7, vcc_lo, s8, v10
	v_add_co_ci_u32_e32 v8, vcc_lo, s9, v11, vcc_lo
	v_lshlrev_b64 v[10:11], 2, v[2:3]
	v_lshlrev_b32_e32 v2, 1, v9
	v_mad_u64_u32 v[46:47], null, s2, v20, 0
	global_load_dwordx2 v[7:8], v[7:8], off offset:160
	v_mul_hi_u32 v57, 0x6c16c16d, v14
	v_add_co_u32 v10, vcc_lo, s8, v10
	v_add_co_ci_u32_e32 v11, vcc_lo, s9, v11, vcc_lo
	v_mul_hi_u32 v58, 0x6c16c16d, v15
	global_load_dwordx2 v[11:12], v[10:11], off offset:160
	v_lshlrev_b64 v[9:10], 2, v[2:3]
	v_lshlrev_b32_e32 v2, 1, v22
	v_mov_b32_e32 v22, v47
	v_sub_nc_u32_e32 v47, v15, v58
	v_lshlrev_b64 v[2:3], 2, v[2:3]
	v_add_co_u32 v9, vcc_lo, s8, v9
	v_add_co_ci_u32_e32 v10, vcc_lo, s9, v10, vcc_lo
	v_add_co_u32 v2, vcc_lo, s8, v2
	global_load_dwordx2 v[9:10], v[9:10], off offset:160
	v_add_co_ci_u32_e32 v3, vcc_lo, s9, v3, vcc_lo
	global_load_dwordx2 v[4:5], v[5:6], off offset:160
	v_add_co_u32 v67, vcc_lo, s12, v0
	global_load_dwordx2 v[2:3], v[2:3], off offset:160
	v_add_co_ci_u32_e32 v68, vcc_lo, s13, v1, vcc_lo
	v_mad_u64_u32 v[0:1], null, s2, v21, 0
	v_mov_b32_e32 v6, v45
	ds_read_u16 v69, v23 offset:126
	ds_read_u16 v70, v23 offset:198
	;; [unrolled: 1-line block ×5, first 2 shown]
	ds_read_u16 v74, v28
	ds_read_u16 v75, v27
	;; [unrolled: 1-line block ×4, first 2 shown]
	ds_read_u16 v78, v23 offset:252
	ds_read_u16 v79, v23 offset:234
	ds_read_u16 v80, v23 offset:216
	v_mov_b32_e32 v25, v49
	v_mov_b32_e32 v26, v51
	v_sub_nc_u32_e32 v28, v13, v56
	v_mov_b32_e32 v27, v53
	v_sub_nc_u32_e32 v45, v14, v57
	ds_read_u16 v82, v23 offset:108
	ds_read_u16 v83, v23 offset:90
	ds_read_u16 v84, v24
	s_waitcnt vmcnt(4)
	v_mad_u64_u32 v[53:54], null, s3, v16, v[6:7]
	v_mad_u64_u32 v[16:17], null, s3, v17, v[25:26]
	;; [unrolled: 1-line block ×3, first 2 shown]
	v_lshrrev_b32_e32 v6, 1, v45
	v_mov_b32_e32 v45, v53
	v_mov_b32_e32 v49, v16
	v_add_nc_u32_e32 v6, v6, v57
	v_mov_b32_e32 v53, v17
	v_lshlrev_b64 v[16:17], 2, v[44:45]
	v_lshrrev_b32_e32 v6, 5, v6
	v_mad_u32_u24 v60, 0x5a, v6, v14
	v_add_nc_u32_e32 v64, 45, v60
	v_add_nc_u32_e32 v65, 0x5a, v60
	s_waitcnt vmcnt(0)
	v_mad_u64_u32 v[54:55], null, s3, v21, v[1:2]
	v_lshrrev_b32_e32 v1, 1, v28
	v_mad_u64_u32 v[20:21], null, s3, v20, v[22:23]
	v_mad_u64_u32 v[21:22], null, s3, v19, v[26:27]
	v_lshrrev_b32_e32 v19, 1, v47
	v_add_nc_u32_e32 v18, v1, v56
	v_mov_b32_e32 v1, v54
	v_lshlrev_b64 v[27:28], 2, v[52:53]
	v_mov_b32_e32 v47, v20
	v_add_nc_u32_e32 v19, v19, v58
	v_lshrrev_b32_e32 v22, 5, v18
	v_lshlrev_b64 v[0:1], 2, v[0:1]
	v_mov_b32_e32 v51, v21
	v_lshlrev_b64 v[20:21], 2, v[48:49]
	v_lshrrev_b32_e32 v54, 5, v19
	v_lshlrev_b64 v[18:19], 2, v[46:47]
	v_mad_u32_u24 v58, 0x5a, v22, v13
	v_add_co_u32 v13, vcc_lo, v67, v16
	v_add_co_ci_u32_e32 v14, vcc_lo, v68, v17, vcc_lo
	v_add_co_u32 v0, vcc_lo, v67, v0
	v_add_co_ci_u32_e32 v1, vcc_lo, v68, v1, vcc_lo
	v_lshlrev_b64 v[25:26], 2, v[50:51]
	v_mad_u32_u24 v61, 0x5a, v54, v15
	v_add_co_u32 v15, vcc_lo, v67, v18
	v_add_co_ci_u32_e32 v16, vcc_lo, v68, v19, vcc_lo
	v_add_co_u32 v17, vcc_lo, v67, v20
	v_add_co_ci_u32_e32 v18, vcc_lo, v68, v21, vcc_lo
	;; [unrolled: 2-line block ×3, first 2 shown]
	v_add_co_u32 v21, vcc_lo, v67, v27
	v_mad_u64_u32 v[25:26], null, s2, v58, 0
	v_add_nc_u32_e32 v62, 45, v58
	v_add_nc_u32_e32 v63, 0x5a, v58
	v_add_co_ci_u32_e32 v22, vcc_lo, v68, v28, vcc_lo
	v_mad_u64_u32 v[27:28], null, s2, v60, 0
	v_mad_u64_u32 v[44:45], null, s2, v61, 0
	;; [unrolled: 1-line block ×4, first 2 shown]
	v_add_nc_u32_e32 v66, 45, v61
	v_add_nc_u32_e32 v81, 0x5a, v61
	v_mad_u64_u32 v[50:51], null, s2, v64, 0
	v_mov_b32_e32 v6, v26
	v_mov_b32_e32 v26, v28
	v_mad_u64_u32 v[52:53], null, s2, v65, 0
	v_mad_u64_u32 v[54:55], null, s2, v66, 0
	;; [unrolled: 1-line block ×3, first 2 shown]
	v_mov_b32_e32 v28, v45
	v_mad_u64_u32 v[58:59], null, s3, v58, v[6:7]
	v_mov_b32_e32 v6, v47
	v_mov_b32_e32 v45, v49
	v_mad_u64_u32 v[59:60], null, s3, v60, v[26:27]
	v_mov_b32_e32 v26, v51
	v_mad_u64_u32 v[60:61], null, s3, v61, v[28:29]
	v_mad_u64_u32 v[61:62], null, s3, v62, v[6:7]
	v_mov_b32_e32 v47, v53
	v_mad_u64_u32 v[62:63], null, s3, v63, v[45:46]
	v_mov_b32_e32 v6, v55
	;; [unrolled: 2-line block ×3, first 2 shown]
	v_mad_u64_u32 v[64:65], null, s3, v65, v[47:48]
	v_mad_u64_u32 v[23:24], null, s3, v66, v[6:7]
	;; [unrolled: 1-line block ×3, first 2 shown]
	v_mov_b32_e32 v26, v58
	v_mov_b32_e32 v28, v59
	v_mov_b32_e32 v45, v60
	v_mov_b32_e32 v47, v61
	v_mov_b32_e32 v55, v23
	v_lshlrev_b64 v[24:25], 2, v[25:26]
	v_lshlrev_b64 v[26:27], 2, v[27:28]
	;; [unrolled: 1-line block ×3, first 2 shown]
	v_mov_b32_e32 v49, v62
	v_lshlrev_b64 v[46:47], 2, v[46:47]
	v_mov_b32_e32 v51, v63
	v_add_co_u32 v23, vcc_lo, v67, v24
	v_add_co_ci_u32_e32 v24, vcc_lo, v68, v25, vcc_lo
	v_add_co_u32 v25, vcc_lo, v67, v26
	v_add_co_ci_u32_e32 v26, vcc_lo, v68, v27, vcc_lo
	v_lshlrev_b64 v[48:49], 2, v[48:49]
	v_add_co_u32 v27, vcc_lo, v67, v44
	v_mov_b32_e32 v53, v64
	v_add_co_ci_u32_e32 v28, vcc_lo, v68, v45, vcc_lo
	v_lshlrev_b64 v[50:51], 2, v[50:51]
	v_add_co_u32 v44, vcc_lo, v67, v46
	v_add_co_ci_u32_e32 v45, vcc_lo, v68, v47, vcc_lo
	v_lshlrev_b64 v[52:53], 2, v[52:53]
	v_add_co_u32 v46, vcc_lo, v67, v48
	v_mov_b32_e32 v57, v65
	v_add_co_ci_u32_e32 v47, vcc_lo, v68, v49, vcc_lo
	v_lshlrev_b64 v[54:55], 2, v[54:55]
	v_add_co_u32 v48, vcc_lo, v67, v50
	v_add_co_ci_u32_e32 v49, vcc_lo, v68, v51, vcc_lo
	v_lshlrev_b64 v[56:57], 2, v[56:57]
	v_add_co_u32 v50, vcc_lo, v67, v52
	v_mul_f16_sdwa v6, v42, v7 dst_sel:DWORD dst_unused:UNUSED_PAD src0_sel:DWORD src1_sel:WORD_1
	v_mul_f16_sdwa v58, v43, v8 dst_sel:DWORD dst_unused:UNUSED_PAD src0_sel:DWORD src1_sel:WORD_1
	s_waitcnt lgkmcnt(11)
	v_mul_f16_sdwa v59, v72, v7 dst_sel:DWORD dst_unused:UNUSED_PAD src0_sel:DWORD src1_sel:WORD_1
	s_waitcnt lgkmcnt(5)
	v_mul_f16_sdwa v60, v78, v8 dst_sel:DWORD dst_unused:UNUSED_PAD src0_sel:DWORD src1_sel:WORD_1
	v_add_co_ci_u32_e32 v51, vcc_lo, v68, v53, vcc_lo
	v_add_co_u32 v52, vcc_lo, v67, v54
	v_add_co_ci_u32_e32 v53, vcc_lo, v68, v55, vcc_lo
	v_add_co_u32 v54, vcc_lo, v67, v56
	v_fma_f16 v6, v72, v7, -v6
	v_fma_f16 v56, v78, v8, -v58
	v_fmac_f16_e32 v59, v42, v7
	v_fmac_f16_e32 v60, v43, v8
	v_mul_f16_sdwa v7, v40, v11 dst_sel:DWORD dst_unused:UNUSED_PAD src0_sel:DWORD src1_sel:WORD_1
	v_mul_f16_sdwa v8, v41, v12 dst_sel:DWORD dst_unused:UNUSED_PAD src0_sel:DWORD src1_sel:WORD_1
	;; [unrolled: 1-line block ×3, first 2 shown]
	s_waitcnt lgkmcnt(4)
	v_mul_f16_sdwa v43, v79, v12 dst_sel:DWORD dst_unused:UNUSED_PAD src0_sel:DWORD src1_sel:WORD_1
	v_add_co_ci_u32_e32 v55, vcc_lo, v68, v57, vcc_lo
	v_add_f16_e32 v57, v6, v56
	v_sub_f16_e32 v58, v59, v60
	v_add_f16_e32 v61, v74, v6
	v_add_f16_e32 v62, v59, v60
	;; [unrolled: 1-line block ×3, first 2 shown]
	v_fma_f16 v7, v73, v11, -v7
	v_fma_f16 v8, v79, v12, -v8
	v_fmac_f16_e32 v42, v40, v11
	v_fmac_f16_e32 v43, v41, v12
	v_mul_f16_sdwa v11, v36, v9 dst_sel:DWORD dst_unused:UNUSED_PAD src0_sel:DWORD src1_sel:WORD_1
	v_mul_f16_sdwa v12, v38, v10 dst_sel:DWORD dst_unused:UNUSED_PAD src0_sel:DWORD src1_sel:WORD_1
	;; [unrolled: 1-line block ×3, first 2 shown]
	s_waitcnt lgkmcnt(3)
	v_mul_f16_sdwa v41, v80, v10 dst_sel:DWORD dst_unused:UNUSED_PAD src0_sel:DWORD src1_sel:WORD_1
	v_mul_f16_sdwa v63, v34, v4 dst_sel:DWORD dst_unused:UNUSED_PAD src0_sel:DWORD src1_sel:WORD_1
	;; [unrolled: 1-line block ×3, first 2 shown]
	s_waitcnt lgkmcnt(1)
	v_mul_f16_sdwa v65, v83, v4 dst_sel:DWORD dst_unused:UNUSED_PAD src0_sel:DWORD src1_sel:WORD_1
	v_mul_f16_sdwa v66, v71, v5 dst_sel:DWORD dst_unused:UNUSED_PAD src0_sel:DWORD src1_sel:WORD_1
	v_sub_f16_e32 v6, v6, v56
	v_fma_f16 v57, -0.5, v57, v74
	v_add_f16_e32 v56, v61, v56
	v_fma_f16 v39, -0.5, v62, v39
	v_add_f16_e32 v59, v59, v60
	v_add_f16_e32 v60, v7, v8
	v_sub_f16_e32 v61, v42, v43
	v_fma_f16 v11, v69, v9, -v11
	v_fma_f16 v12, v80, v10, -v12
	v_add_f16_e32 v67, v42, v43
	v_add_f16_e32 v42, v35, v42
	v_fmac_f16_e32 v40, v36, v9
	v_fmac_f16_e32 v41, v38, v10
	v_mul_f16_sdwa v9, v31, v2 dst_sel:DWORD dst_unused:UNUSED_PAD src0_sel:DWORD src1_sel:WORD_1
	v_mul_f16_sdwa v10, v33, v3 dst_sel:DWORD dst_unused:UNUSED_PAD src0_sel:DWORD src1_sel:WORD_1
	;; [unrolled: 1-line block ×4, first 2 shown]
	v_fma_f16 v63, v83, v4, -v63
	v_fma_f16 v64, v71, v5, -v64
	v_fmac_f16_e32 v65, v34, v4
	v_fmac_f16_e32 v66, v37, v5
	v_add_f16_e32 v62, v75, v7
	v_sub_f16_e32 v7, v7, v8
	v_fmamk_f16 v4, v58, 0xbaee, v57
	v_fmac_f16_e32 v57, 0x3aee, v58
	v_fmamk_f16 v5, v6, 0x3aee, v39
	v_fmac_f16_e32 v39, 0xbaee, v6
	v_fma_f16 v6, -0.5, v60, v75
	v_fma_f16 v34, -0.5, v67, v35
	v_add_f16_e32 v35, v42, v43
	v_add_f16_e32 v37, v11, v12
	v_sub_f16_e32 v42, v40, v41
	v_add_f16_e32 v58, v40, v41
	v_add_f16_e32 v40, v32, v40
	v_fma_f16 v9, v82, v2, -v9
	v_fma_f16 v10, v70, v3, -v10
	v_fmac_f16_e32 v36, v31, v2
	v_fmac_f16_e32 v38, v33, v3
	v_add_f16_e32 v2, v63, v64
	v_add_f16_e32 v33, v65, v66
	;; [unrolled: 1-line block ×4, first 2 shown]
	v_sub_f16_e32 v11, v11, v12
	v_pack_b32_f16 v56, v59, v56
	v_fmamk_f16 v59, v61, 0xbaee, v6
	v_fmac_f16_e32 v6, 0x3aee, v61
	v_fmamk_f16 v61, v7, 0x3aee, v34
	v_fmac_f16_e32 v34, 0xbaee, v7
	v_fma_f16 v7, -0.5, v37, v76
	v_fma_f16 v32, -0.5, v58, v32
	v_add_f16_e32 v37, v40, v41
	v_add_f16_e32 v40, v9, v10
	;; [unrolled: 1-line block ×3, first 2 shown]
	v_sub_f16_e32 v3, v65, v66
	s_waitcnt lgkmcnt(0)
	v_add_f16_e32 v31, v84, v63
	v_sub_f16_e32 v60, v63, v64
	v_add_f16_e32 v62, v29, v65
	v_sub_f16_e32 v41, v36, v38
	v_add_f16_e32 v36, v30, v36
	v_fma_f16 v2, -0.5, v2, v84
	v_fma_f16 v29, -0.5, v33, v29
	v_add_f16_e32 v12, v43, v12
	v_add_f16_e32 v43, v77, v9
	v_sub_f16_e32 v9, v9, v10
	v_pack_b32_f16 v8, v35, v8
	v_pack_b32_f16 v35, v39, v57
	v_fmamk_f16 v39, v11, 0x3aee, v32
	v_fmac_f16_e32 v32, 0xbaee, v11
	v_fma_f16 v11, -0.5, v40, v77
	v_fma_f16 v30, -0.5, v58, v30
	v_add_f16_e32 v31, v31, v64
	v_add_f16_e32 v33, v62, v66
	;; [unrolled: 1-line block ×3, first 2 shown]
	v_fmamk_f16 v38, v3, 0xbaee, v2
	v_fmac_f16_e32 v2, 0x3aee, v3
	v_fmamk_f16 v3, v60, 0x3aee, v29
	v_fmac_f16_e32 v29, 0xbaee, v60
	v_add_f16_e32 v10, v43, v10
	v_pack_b32_f16 v12, v37, v12
	v_pack_b32_f16 v6, v34, v6
	v_fmamk_f16 v34, v41, 0xbaee, v11
	v_fmac_f16_e32 v11, 0x3aee, v41
	v_fmamk_f16 v37, v9, 0x3aee, v30
	v_fmac_f16_e32 v30, 0xbaee, v9
	v_pack_b32_f16 v4, v5, v4
	v_fmamk_f16 v5, v42, 0xbaee, v7
	v_fmac_f16_e32 v7, 0x3aee, v42
	v_pack_b32_f16 v31, v33, v31
	v_pack_b32_f16 v2, v29, v2
	;; [unrolled: 1-line block ×7, first 2 shown]
	global_store_dword v[13:14], v31, off
	v_pack_b32_f16 v7, v32, v7
	v_pack_b32_f16 v5, v39, v5
	global_store_dword v[0:1], v2, off
	global_store_dword v[15:16], v3, off
	;; [unrolled: 1-line block ×14, first 2 shown]
.LBB0_14:
	s_endpgm
	.section	.rodata,"a",@progbits
	.p2align	6, 0x0
	.amdhsa_kernel fft_rtc_back_len135_factors_5_3_3_3_wgs_126_tpt_9_halfLds_half_ip_CI_sbrr_dirReg
		.amdhsa_group_segment_fixed_size 0
		.amdhsa_private_segment_fixed_size 0
		.amdhsa_kernarg_size 88
		.amdhsa_user_sgpr_count 6
		.amdhsa_user_sgpr_private_segment_buffer 1
		.amdhsa_user_sgpr_dispatch_ptr 0
		.amdhsa_user_sgpr_queue_ptr 0
		.amdhsa_user_sgpr_kernarg_segment_ptr 1
		.amdhsa_user_sgpr_dispatch_id 0
		.amdhsa_user_sgpr_flat_scratch_init 0
		.amdhsa_user_sgpr_private_segment_size 0
		.amdhsa_wavefront_size32 1
		.amdhsa_uses_dynamic_stack 0
		.amdhsa_system_sgpr_private_segment_wavefront_offset 0
		.amdhsa_system_sgpr_workgroup_id_x 1
		.amdhsa_system_sgpr_workgroup_id_y 0
		.amdhsa_system_sgpr_workgroup_id_z 0
		.amdhsa_system_sgpr_workgroup_info 0
		.amdhsa_system_vgpr_workitem_id 0
		.amdhsa_next_free_vgpr 85
		.amdhsa_next_free_sgpr 23
		.amdhsa_reserve_vcc 1
		.amdhsa_reserve_flat_scratch 0
		.amdhsa_float_round_mode_32 0
		.amdhsa_float_round_mode_16_64 0
		.amdhsa_float_denorm_mode_32 3
		.amdhsa_float_denorm_mode_16_64 3
		.amdhsa_dx10_clamp 1
		.amdhsa_ieee_mode 1
		.amdhsa_fp16_overflow 0
		.amdhsa_workgroup_processor_mode 1
		.amdhsa_memory_ordered 1
		.amdhsa_forward_progress 0
		.amdhsa_shared_vgpr_count 0
		.amdhsa_exception_fp_ieee_invalid_op 0
		.amdhsa_exception_fp_denorm_src 0
		.amdhsa_exception_fp_ieee_div_zero 0
		.amdhsa_exception_fp_ieee_overflow 0
		.amdhsa_exception_fp_ieee_underflow 0
		.amdhsa_exception_fp_ieee_inexact 0
		.amdhsa_exception_int_div_zero 0
	.end_amdhsa_kernel
	.text
.Lfunc_end0:
	.size	fft_rtc_back_len135_factors_5_3_3_3_wgs_126_tpt_9_halfLds_half_ip_CI_sbrr_dirReg, .Lfunc_end0-fft_rtc_back_len135_factors_5_3_3_3_wgs_126_tpt_9_halfLds_half_ip_CI_sbrr_dirReg
                                        ; -- End function
	.section	.AMDGPU.csdata,"",@progbits
; Kernel info:
; codeLenInByte = 8912
; NumSgprs: 25
; NumVgprs: 85
; ScratchSize: 0
; MemoryBound: 0
; FloatMode: 240
; IeeeMode: 1
; LDSByteSize: 0 bytes/workgroup (compile time only)
; SGPRBlocks: 3
; VGPRBlocks: 10
; NumSGPRsForWavesPerEU: 25
; NumVGPRsForWavesPerEU: 85
; Occupancy: 10
; WaveLimiterHint : 1
; COMPUTE_PGM_RSRC2:SCRATCH_EN: 0
; COMPUTE_PGM_RSRC2:USER_SGPR: 6
; COMPUTE_PGM_RSRC2:TRAP_HANDLER: 0
; COMPUTE_PGM_RSRC2:TGID_X_EN: 1
; COMPUTE_PGM_RSRC2:TGID_Y_EN: 0
; COMPUTE_PGM_RSRC2:TGID_Z_EN: 0
; COMPUTE_PGM_RSRC2:TIDIG_COMP_CNT: 0
	.text
	.p2alignl 6, 3214868480
	.fill 48, 4, 3214868480
	.type	__hip_cuid_e2170f84c332415a,@object ; @__hip_cuid_e2170f84c332415a
	.section	.bss,"aw",@nobits
	.globl	__hip_cuid_e2170f84c332415a
__hip_cuid_e2170f84c332415a:
	.byte	0                               ; 0x0
	.size	__hip_cuid_e2170f84c332415a, 1

	.ident	"AMD clang version 19.0.0git (https://github.com/RadeonOpenCompute/llvm-project roc-6.4.0 25133 c7fe45cf4b819c5991fe208aaa96edf142730f1d)"
	.section	".note.GNU-stack","",@progbits
	.addrsig
	.addrsig_sym __hip_cuid_e2170f84c332415a
	.amdgpu_metadata
---
amdhsa.kernels:
  - .args:
      - .actual_access:  read_only
        .address_space:  global
        .offset:         0
        .size:           8
        .value_kind:     global_buffer
      - .offset:         8
        .size:           8
        .value_kind:     by_value
      - .actual_access:  read_only
        .address_space:  global
        .offset:         16
        .size:           8
        .value_kind:     global_buffer
      - .actual_access:  read_only
        .address_space:  global
        .offset:         24
        .size:           8
        .value_kind:     global_buffer
      - .offset:         32
        .size:           8
        .value_kind:     by_value
      - .actual_access:  read_only
        .address_space:  global
        .offset:         40
        .size:           8
        .value_kind:     global_buffer
      - .actual_access:  read_only
        .address_space:  global
        .offset:         48
        .size:           8
        .value_kind:     global_buffer
      - .offset:         56
        .size:           4
        .value_kind:     by_value
      - .actual_access:  read_only
        .address_space:  global
        .offset:         64
        .size:           8
        .value_kind:     global_buffer
      - .actual_access:  read_only
        .address_space:  global
        .offset:         72
        .size:           8
        .value_kind:     global_buffer
      - .address_space:  global
        .offset:         80
        .size:           8
        .value_kind:     global_buffer
    .group_segment_fixed_size: 0
    .kernarg_segment_align: 8
    .kernarg_segment_size: 88
    .language:       OpenCL C
    .language_version:
      - 2
      - 0
    .max_flat_workgroup_size: 126
    .name:           fft_rtc_back_len135_factors_5_3_3_3_wgs_126_tpt_9_halfLds_half_ip_CI_sbrr_dirReg
    .private_segment_fixed_size: 0
    .sgpr_count:     25
    .sgpr_spill_count: 0
    .symbol:         fft_rtc_back_len135_factors_5_3_3_3_wgs_126_tpt_9_halfLds_half_ip_CI_sbrr_dirReg.kd
    .uniform_work_group_size: 1
    .uses_dynamic_stack: false
    .vgpr_count:     85
    .vgpr_spill_count: 0
    .wavefront_size: 32
    .workgroup_processor_mode: 1
amdhsa.target:   amdgcn-amd-amdhsa--gfx1030
amdhsa.version:
  - 1
  - 2
...

	.end_amdgpu_metadata
